;; amdgpu-corpus repo=ROCm/rocSPARSE kind=compiled arch=gfx1250 opt=O3
	.amdgcn_target "amdgcn-amd-amdhsa--gfx1250"
	.amdhsa_code_object_version 6
	.section	.text._ZN9rocsparseL18hyb2csr_nnz_kernelILj256EEEviiiiPKiiS2_Pi21rocsparse_index_base_,"axG",@progbits,_ZN9rocsparseL18hyb2csr_nnz_kernelILj256EEEviiiiPKiiS2_Pi21rocsparse_index_base_,comdat
	.globl	_ZN9rocsparseL18hyb2csr_nnz_kernelILj256EEEviiiiPKiiS2_Pi21rocsparse_index_base_ ; -- Begin function _ZN9rocsparseL18hyb2csr_nnz_kernelILj256EEEviiiiPKiiS2_Pi21rocsparse_index_base_
	.p2align	8
	.type	_ZN9rocsparseL18hyb2csr_nnz_kernelILj256EEEviiiiPKiiS2_Pi21rocsparse_index_base_,@function
_ZN9rocsparseL18hyb2csr_nnz_kernelILj256EEEviiiiPKiiS2_Pi21rocsparse_index_base_: ; @_ZN9rocsparseL18hyb2csr_nnz_kernelILj256EEEviiiiPKiiS2_Pi21rocsparse_index_base_
; %bb.0:
	s_load_b128 s[4:7], s[0:1], 0x0
	s_bfe_u32 s2, ttmp6, 0x4000c
	s_and_b32 s3, ttmp6, 15
	s_add_co_i32 s2, s2, 1
	s_getreg_b32 s8, hwreg(HW_REG_IB_STS2, 6, 4)
	s_mul_i32 s2, ttmp9, s2
	s_delay_alu instid0(SALU_CYCLE_1) | instskip(SKIP_2) | instid1(SALU_CYCLE_1)
	s_add_co_i32 s3, s3, s2
	s_cmp_eq_u32 s8, 0
	s_cselect_b32 s2, ttmp9, s3
	v_lshl_or_b32 v0, s2, 8, v0
	s_mov_b32 s2, exec_lo
	s_wait_kmcnt 0x0
	s_delay_alu instid0(VALU_DEP_1)
	v_cmpx_gt_i32_e64 s4, v0
	s_cbranch_execz .LBB0_11
; %bb.1:
	s_clause 0x1
	s_load_b32 s2, s[0:1], 0x18
	s_load_b128 s[8:11], s[0:1], 0x20
	s_wait_kmcnt 0x0
	s_cmp_lt_i32 s2, 1
	s_cbranch_scc1 .LBB0_8
; %bb.2:
	v_ashrrev_i32_e32 v1, 31, v0
	s_delay_alu instid0(VALU_DEP_1) | instskip(SKIP_4) | instid1(SALU_CYCLE_1)
	v_lshl_add_u64 v[2:3], v[0:1], 2, s[8:9]
	global_load_b64 v[2:3], v[2:3], off
	s_wait_loadcnt 0x0
	v_sub_nc_u32_e32 v1, v3, v2
	s_min_i32 s2, s6, s7
	s_cmp_lt_i32 s2, 1
	s_cbranch_scc1 .LBB0_9
.LBB0_3:
	s_clause 0x1
	s_load_b64 s[2:3], s[0:1], 0x10
	s_load_b32 s6, s[0:1], 0x30
	v_dual_mov_b32 v3, s7 :: v_dual_add_nc_u32 v2, s7, v1
	v_mov_b32_e32 v4, v0
	s_wait_xcnt 0x0
	s_mov_b32 s1, 0
                                        ; implicit-def: $sgpr7
	s_branch .LBB0_5
.LBB0_4:                                ;   in Loop: Header=BB0_5 Depth=1
	s_or_b32 exec_lo, exec_lo, s0
	v_dual_mov_b32 v6, v1 :: v_dual_mov_b32 v1, v5
	s_and_b32 s0, exec_lo, s7
	s_delay_alu instid0(SALU_CYCLE_1) | instskip(NEXT) | instid1(SALU_CYCLE_1)
	s_or_b32 s1, s0, s1
	s_and_not1_b32 exec_lo, exec_lo, s1
	s_cbranch_execz .LBB0_7
.LBB0_5:                                ; =>This Inner Loop Header: Depth=1
	s_wait_kmcnt 0x0
	global_load_b32 v5, v4, s[2:3] scale_offset
	s_or_b32 s7, s7, exec_lo
	s_wait_loadcnt 0x0
	v_subrev_nc_u32_e32 v5, s6, v5
	s_delay_alu instid0(VALU_DEP_1) | instskip(SKIP_2) | instid1(SALU_CYCLE_1)
	v_cmp_lt_i32_e32 vcc_lo, -1, v5
	v_cmp_gt_i32_e64 s0, s5, v5
                                        ; implicit-def: $vgpr5
	s_and_b32 s8, vcc_lo, s0
	s_and_saveexec_b32 s0, s8
	s_cbranch_execz .LBB0_4
; %bb.6:                                ;   in Loop: Header=BB0_5 Depth=1
	v_dual_add_nc_u32 v3, -1, v3 :: v_dual_add_nc_u32 v5, 1, v1
	v_dual_mov_b32 v1, v2 :: v_dual_add_nc_u32 v4, s4, v4
	s_and_not1_b32 s7, s7, exec_lo
	s_delay_alu instid0(VALU_DEP_2) | instskip(SKIP_1) | instid1(SALU_CYCLE_1)
	v_cmp_eq_u32_e32 vcc_lo, 0, v3
	s_and_b32 s8, vcc_lo, exec_lo
	s_or_b32 s7, s7, s8
	s_branch .LBB0_4
.LBB0_7:
	s_or_b32 exec_lo, exec_lo, s1
	s_branch .LBB0_10
.LBB0_8:
	v_mov_b32_e32 v1, 0
	s_min_i32 s2, s6, s7
	s_delay_alu instid0(SALU_CYCLE_1)
	s_cmp_lt_i32 s2, 1
	s_cbranch_scc0 .LBB0_3
.LBB0_9:
	s_delay_alu instid0(VALU_DEP_1)
	v_mov_b32_e32 v6, v1
.LBB0_10:
	global_store_b32 v0, v6, s[10:11] scale_offset
.LBB0_11:
	s_endpgm
	.section	.rodata,"a",@progbits
	.p2align	6, 0x0
	.amdhsa_kernel _ZN9rocsparseL18hyb2csr_nnz_kernelILj256EEEviiiiPKiiS2_Pi21rocsparse_index_base_
		.amdhsa_group_segment_fixed_size 0
		.amdhsa_private_segment_fixed_size 0
		.amdhsa_kernarg_size 52
		.amdhsa_user_sgpr_count 2
		.amdhsa_user_sgpr_dispatch_ptr 0
		.amdhsa_user_sgpr_queue_ptr 0
		.amdhsa_user_sgpr_kernarg_segment_ptr 1
		.amdhsa_user_sgpr_dispatch_id 0
		.amdhsa_user_sgpr_kernarg_preload_length 0
		.amdhsa_user_sgpr_kernarg_preload_offset 0
		.amdhsa_user_sgpr_private_segment_size 0
		.amdhsa_wavefront_size32 1
		.amdhsa_uses_dynamic_stack 0
		.amdhsa_enable_private_segment 0
		.amdhsa_system_sgpr_workgroup_id_x 1
		.amdhsa_system_sgpr_workgroup_id_y 0
		.amdhsa_system_sgpr_workgroup_id_z 0
		.amdhsa_system_sgpr_workgroup_info 0
		.amdhsa_system_vgpr_workitem_id 0
		.amdhsa_next_free_vgpr 7
		.amdhsa_next_free_sgpr 12
		.amdhsa_named_barrier_count 0
		.amdhsa_reserve_vcc 1
		.amdhsa_float_round_mode_32 0
		.amdhsa_float_round_mode_16_64 0
		.amdhsa_float_denorm_mode_32 3
		.amdhsa_float_denorm_mode_16_64 3
		.amdhsa_fp16_overflow 0
		.amdhsa_memory_ordered 1
		.amdhsa_forward_progress 1
		.amdhsa_inst_pref_size 4
		.amdhsa_round_robin_scheduling 0
		.amdhsa_exception_fp_ieee_invalid_op 0
		.amdhsa_exception_fp_denorm_src 0
		.amdhsa_exception_fp_ieee_div_zero 0
		.amdhsa_exception_fp_ieee_overflow 0
		.amdhsa_exception_fp_ieee_underflow 0
		.amdhsa_exception_fp_ieee_inexact 0
		.amdhsa_exception_int_div_zero 0
	.end_amdhsa_kernel
	.section	.text._ZN9rocsparseL18hyb2csr_nnz_kernelILj256EEEviiiiPKiiS2_Pi21rocsparse_index_base_,"axG",@progbits,_ZN9rocsparseL18hyb2csr_nnz_kernelILj256EEEviiiiPKiiS2_Pi21rocsparse_index_base_,comdat
.Lfunc_end0:
	.size	_ZN9rocsparseL18hyb2csr_nnz_kernelILj256EEEviiiiPKiiS2_Pi21rocsparse_index_base_, .Lfunc_end0-_ZN9rocsparseL18hyb2csr_nnz_kernelILj256EEEviiiiPKiiS2_Pi21rocsparse_index_base_
                                        ; -- End function
	.set _ZN9rocsparseL18hyb2csr_nnz_kernelILj256EEEviiiiPKiiS2_Pi21rocsparse_index_base_.num_vgpr, 7
	.set _ZN9rocsparseL18hyb2csr_nnz_kernelILj256EEEviiiiPKiiS2_Pi21rocsparse_index_base_.num_agpr, 0
	.set _ZN9rocsparseL18hyb2csr_nnz_kernelILj256EEEviiiiPKiiS2_Pi21rocsparse_index_base_.numbered_sgpr, 12
	.set _ZN9rocsparseL18hyb2csr_nnz_kernelILj256EEEviiiiPKiiS2_Pi21rocsparse_index_base_.num_named_barrier, 0
	.set _ZN9rocsparseL18hyb2csr_nnz_kernelILj256EEEviiiiPKiiS2_Pi21rocsparse_index_base_.private_seg_size, 0
	.set _ZN9rocsparseL18hyb2csr_nnz_kernelILj256EEEviiiiPKiiS2_Pi21rocsparse_index_base_.uses_vcc, 1
	.set _ZN9rocsparseL18hyb2csr_nnz_kernelILj256EEEviiiiPKiiS2_Pi21rocsparse_index_base_.uses_flat_scratch, 0
	.set _ZN9rocsparseL18hyb2csr_nnz_kernelILj256EEEviiiiPKiiS2_Pi21rocsparse_index_base_.has_dyn_sized_stack, 0
	.set _ZN9rocsparseL18hyb2csr_nnz_kernelILj256EEEviiiiPKiiS2_Pi21rocsparse_index_base_.has_recursion, 0
	.set _ZN9rocsparseL18hyb2csr_nnz_kernelILj256EEEviiiiPKiiS2_Pi21rocsparse_index_base_.has_indirect_call, 0
	.section	.AMDGPU.csdata,"",@progbits
; Kernel info:
; codeLenInByte = 388
; TotalNumSgprs: 14
; NumVgprs: 7
; ScratchSize: 0
; MemoryBound: 0
; FloatMode: 240
; IeeeMode: 1
; LDSByteSize: 0 bytes/workgroup (compile time only)
; SGPRBlocks: 0
; VGPRBlocks: 0
; NumSGPRsForWavesPerEU: 14
; NumVGPRsForWavesPerEU: 7
; NamedBarCnt: 0
; Occupancy: 16
; WaveLimiterHint : 0
; COMPUTE_PGM_RSRC2:SCRATCH_EN: 0
; COMPUTE_PGM_RSRC2:USER_SGPR: 2
; COMPUTE_PGM_RSRC2:TRAP_HANDLER: 0
; COMPUTE_PGM_RSRC2:TGID_X_EN: 1
; COMPUTE_PGM_RSRC2:TGID_Y_EN: 0
; COMPUTE_PGM_RSRC2:TGID_Z_EN: 0
; COMPUTE_PGM_RSRC2:TIDIG_COMP_CNT: 0
	.section	.text._ZN9rocsparseL19hyb2csr_fill_kernelILj256EfEEviiiiPKiPKT0_iS2_S2_S5_S2_PiPS3_21rocsparse_index_base_,"axG",@progbits,_ZN9rocsparseL19hyb2csr_fill_kernelILj256EfEEviiiiPKiPKT0_iS2_S2_S5_S2_PiPS3_21rocsparse_index_base_,comdat
	.globl	_ZN9rocsparseL19hyb2csr_fill_kernelILj256EfEEviiiiPKiPKT0_iS2_S2_S5_S2_PiPS3_21rocsparse_index_base_ ; -- Begin function _ZN9rocsparseL19hyb2csr_fill_kernelILj256EfEEviiiiPKiPKT0_iS2_S2_S5_S2_PiPS3_21rocsparse_index_base_
	.p2align	8
	.type	_ZN9rocsparseL19hyb2csr_fill_kernelILj256EfEEviiiiPKiPKT0_iS2_S2_S5_S2_PiPS3_21rocsparse_index_base_,@function
_ZN9rocsparseL19hyb2csr_fill_kernelILj256EfEEviiiiPKiPKT0_iS2_S2_S5_S2_PiPS3_21rocsparse_index_base_: ; @_ZN9rocsparseL19hyb2csr_fill_kernelILj256EfEEviiiiPKiPKT0_iS2_S2_S5_S2_PiPS3_21rocsparse_index_base_
; %bb.0:
	s_load_b128 s[16:19], s[0:1], 0x0
	s_bfe_u32 s2, ttmp6, 0x4000c
	s_and_b32 s3, ttmp6, 15
	s_add_co_i32 s2, s2, 1
	s_getreg_b32 s4, hwreg(HW_REG_IB_STS2, 6, 4)
	s_mul_i32 s2, ttmp9, s2
	s_delay_alu instid0(SALU_CYCLE_1) | instskip(SKIP_2) | instid1(SALU_CYCLE_1)
	s_add_co_i32 s3, s3, s2
	s_cmp_eq_u32 s4, 0
	s_cselect_b32 s2, ttmp9, s3
	v_lshl_or_b32 v2, s2, 8, v0
	s_mov_b32 s2, exec_lo
	s_wait_kmcnt 0x0
	s_delay_alu instid0(VALU_DEP_1)
	v_cmpx_gt_i32_e64 s16, v2
	s_cbranch_execz .LBB1_11
; %bb.1:
	s_load_b256 s[4:11], s[0:1], 0x28
	v_ashrrev_i32_e32 v3, 31, v2
	s_min_i32 s2, s18, s19
	s_delay_alu instid0(SALU_CYCLE_1)
	s_cmp_lt_i32 s2, 1
	s_wait_kmcnt 0x0
	global_load_b32 v0, v2, s[10:11] scale_offset
	s_clause 0x1
	s_load_b32 s3, s[0:1], 0x58
	s_load_b128 s[12:15], s[0:1], 0x48
	s_wait_loadcnt 0x0
	s_wait_kmcnt 0x0
	v_subrev_nc_u32_e32 v0, s3, v0
	s_cbranch_scc1 .LBB1_7
; %bb.2:
	s_load_b128 s[20:23], s[0:1], 0x10
	s_add_co_i32 s2, s19, -1
	s_delay_alu instid0(SALU_CYCLE_1)
	v_dual_mov_b32 v4, v2 :: v_dual_mov_b32 v1, s2
	s_add_co_i32 s11, s3, s17
	s_mov_b32 s10, 0
	s_branch .LBB1_4
.LBB1_3:                                ;   in Loop: Header=BB1_4 Depth=1
	s_or_b32 exec_lo, exec_lo, s17
	v_sub_co_u32 v1, s17, v1, 1
	s_or_b32 s2, s2, s17
	v_add_nc_u32_e32 v4, s16, v4
	s_and_b32 s2, exec_lo, s2
	s_delay_alu instid0(SALU_CYCLE_1) | instskip(NEXT) | instid1(SALU_CYCLE_1)
	s_or_b32 s10, s2, s10
	s_and_not1_b32 exec_lo, exec_lo, s10
	s_cbranch_execz .LBB1_6
.LBB1_4:                                ; =>This Inner Loop Header: Depth=1
	s_wait_kmcnt 0x0
	global_load_b32 v6, v4, s[20:21] scale_offset
	v_ashrrev_i32_e32 v5, 31, v4
	s_wait_loadcnt 0x0
	v_cmp_gt_i32_e32 vcc_lo, s3, v6
	v_cmp_le_i32_e64 s2, s11, v6
	s_or_b32 s2, vcc_lo, s2
	s_delay_alu instid0(SALU_CYCLE_1)
	s_xor_b32 s18, s2, -1
	s_wait_xcnt 0x0
	s_and_saveexec_b32 s17, s18
	s_cbranch_execz .LBB1_3
; %bb.5:                                ;   in Loop: Header=BB1_4 Depth=1
	v_lshl_add_u64 v[8:9], v[4:5], 2, s[22:23]
	v_add_nc_u32_e32 v7, 1, v0
	global_load_b32 v5, v[8:9], off
	global_store_b32 v0, v6, s[12:13] scale_offset
	s_wait_loadcnt 0x0
	global_store_b32 v0, v5, s[14:15] scale_offset
	s_wait_xcnt 0x0
	v_mov_b32_e32 v0, v7
	s_branch .LBB1_3
.LBB1_6:
	s_or_b32 exec_lo, exec_lo, s10
.LBB1_7:
	s_load_b32 s0, s[0:1], 0x20
	s_wait_kmcnt 0x0
	s_cmp_lt_i32 s0, 1
	s_cbranch_scc1 .LBB1_11
; %bb.8:
	v_lshl_add_u64 v[2:3], v[2:3], 2, s[4:5]
	global_load_b64 v[10:11], v[2:3], off
	s_wait_loadcnt 0x0
	v_cmp_lt_i32_e32 vcc_lo, v10, v11
	s_wait_xcnt 0x0
	s_and_b32 exec_lo, exec_lo, vcc_lo
	s_cbranch_execz .LBB1_11
; %bb.9:
	v_subrev_nc_u32_e32 v2, s3, v10
	v_ashrrev_i32_e32 v1, 31, v0
	s_mov_b32 s0, 0
	s_delay_alu instid0(VALU_DEP_2) | instskip(NEXT) | instid1(VALU_DEP_2)
	v_ashrrev_i32_e32 v3, 31, v2
	v_lshlrev_b64_e32 v[8:9], 2, v[0:1]
	s_delay_alu instid0(VALU_DEP_2) | instskip(SKIP_1) | instid1(VALU_DEP_3)
	v_lshlrev_b64_e32 v[6:7], 2, v[2:3]
	v_subrev_nc_u32_e32 v3, s3, v11
	v_add_nc_u64_e32 v[0:1], s[12:13], v[8:9]
	v_add_nc_u64_e32 v[8:9], s[14:15], v[8:9]
	s_delay_alu instid0(VALU_DEP_4)
	v_add_nc_u64_e32 v[4:5], s[6:7], v[6:7]
	v_add_nc_u64_e32 v[6:7], s[8:9], v[6:7]
.LBB1_10:                               ; =>This Inner Loop Header: Depth=1
	global_load_b32 v10, v[4:5], off
	global_load_b32 v11, v[6:7], off
	v_add_nc_u32_e32 v2, 1, v2
	s_wait_xcnt 0x1
	v_add_nc_u64_e32 v[4:5], 4, v[4:5]
	s_wait_xcnt 0x0
	v_add_nc_u64_e32 v[6:7], 4, v[6:7]
	s_wait_loadcnt 0x1
	global_store_b32 v[0:1], v10, off
	s_wait_loadcnt 0x0
	global_store_b32 v[8:9], v11, off
	v_cmp_ge_i32_e32 vcc_lo, v2, v3
	s_wait_xcnt 0x1
	v_add_nc_u64_e32 v[0:1], 4, v[0:1]
	s_wait_xcnt 0x0
	v_add_nc_u64_e32 v[8:9], 4, v[8:9]
	s_or_b32 s0, vcc_lo, s0
	s_delay_alu instid0(SALU_CYCLE_1)
	s_and_not1_b32 exec_lo, exec_lo, s0
	s_cbranch_execnz .LBB1_10
.LBB1_11:
	s_endpgm
	.section	.rodata,"a",@progbits
	.p2align	6, 0x0
	.amdhsa_kernel _ZN9rocsparseL19hyb2csr_fill_kernelILj256EfEEviiiiPKiPKT0_iS2_S2_S5_S2_PiPS3_21rocsparse_index_base_
		.amdhsa_group_segment_fixed_size 0
		.amdhsa_private_segment_fixed_size 0
		.amdhsa_kernarg_size 92
		.amdhsa_user_sgpr_count 2
		.amdhsa_user_sgpr_dispatch_ptr 0
		.amdhsa_user_sgpr_queue_ptr 0
		.amdhsa_user_sgpr_kernarg_segment_ptr 1
		.amdhsa_user_sgpr_dispatch_id 0
		.amdhsa_user_sgpr_kernarg_preload_length 0
		.amdhsa_user_sgpr_kernarg_preload_offset 0
		.amdhsa_user_sgpr_private_segment_size 0
		.amdhsa_wavefront_size32 1
		.amdhsa_uses_dynamic_stack 0
		.amdhsa_enable_private_segment 0
		.amdhsa_system_sgpr_workgroup_id_x 1
		.amdhsa_system_sgpr_workgroup_id_y 0
		.amdhsa_system_sgpr_workgroup_id_z 0
		.amdhsa_system_sgpr_workgroup_info 0
		.amdhsa_system_vgpr_workitem_id 0
		.amdhsa_next_free_vgpr 12
		.amdhsa_next_free_sgpr 24
		.amdhsa_named_barrier_count 0
		.amdhsa_reserve_vcc 1
		.amdhsa_float_round_mode_32 0
		.amdhsa_float_round_mode_16_64 0
		.amdhsa_float_denorm_mode_32 3
		.amdhsa_float_denorm_mode_16_64 3
		.amdhsa_fp16_overflow 0
		.amdhsa_memory_ordered 1
		.amdhsa_forward_progress 1
		.amdhsa_inst_pref_size 5
		.amdhsa_round_robin_scheduling 0
		.amdhsa_exception_fp_ieee_invalid_op 0
		.amdhsa_exception_fp_denorm_src 0
		.amdhsa_exception_fp_ieee_div_zero 0
		.amdhsa_exception_fp_ieee_overflow 0
		.amdhsa_exception_fp_ieee_underflow 0
		.amdhsa_exception_fp_ieee_inexact 0
		.amdhsa_exception_int_div_zero 0
	.end_amdhsa_kernel
	.section	.text._ZN9rocsparseL19hyb2csr_fill_kernelILj256EfEEviiiiPKiPKT0_iS2_S2_S5_S2_PiPS3_21rocsparse_index_base_,"axG",@progbits,_ZN9rocsparseL19hyb2csr_fill_kernelILj256EfEEviiiiPKiPKT0_iS2_S2_S5_S2_PiPS3_21rocsparse_index_base_,comdat
.Lfunc_end1:
	.size	_ZN9rocsparseL19hyb2csr_fill_kernelILj256EfEEviiiiPKiPKT0_iS2_S2_S5_S2_PiPS3_21rocsparse_index_base_, .Lfunc_end1-_ZN9rocsparseL19hyb2csr_fill_kernelILj256EfEEviiiiPKiPKT0_iS2_S2_S5_S2_PiPS3_21rocsparse_index_base_
                                        ; -- End function
	.set _ZN9rocsparseL19hyb2csr_fill_kernelILj256EfEEviiiiPKiPKT0_iS2_S2_S5_S2_PiPS3_21rocsparse_index_base_.num_vgpr, 12
	.set _ZN9rocsparseL19hyb2csr_fill_kernelILj256EfEEviiiiPKiPKT0_iS2_S2_S5_S2_PiPS3_21rocsparse_index_base_.num_agpr, 0
	.set _ZN9rocsparseL19hyb2csr_fill_kernelILj256EfEEviiiiPKiPKT0_iS2_S2_S5_S2_PiPS3_21rocsparse_index_base_.numbered_sgpr, 24
	.set _ZN9rocsparseL19hyb2csr_fill_kernelILj256EfEEviiiiPKiPKT0_iS2_S2_S5_S2_PiPS3_21rocsparse_index_base_.num_named_barrier, 0
	.set _ZN9rocsparseL19hyb2csr_fill_kernelILj256EfEEviiiiPKiPKT0_iS2_S2_S5_S2_PiPS3_21rocsparse_index_base_.private_seg_size, 0
	.set _ZN9rocsparseL19hyb2csr_fill_kernelILj256EfEEviiiiPKiPKT0_iS2_S2_S5_S2_PiPS3_21rocsparse_index_base_.uses_vcc, 1
	.set _ZN9rocsparseL19hyb2csr_fill_kernelILj256EfEEviiiiPKiPKT0_iS2_S2_S5_S2_PiPS3_21rocsparse_index_base_.uses_flat_scratch, 0
	.set _ZN9rocsparseL19hyb2csr_fill_kernelILj256EfEEviiiiPKiPKT0_iS2_S2_S5_S2_PiPS3_21rocsparse_index_base_.has_dyn_sized_stack, 0
	.set _ZN9rocsparseL19hyb2csr_fill_kernelILj256EfEEviiiiPKiPKT0_iS2_S2_S5_S2_PiPS3_21rocsparse_index_base_.has_recursion, 0
	.set _ZN9rocsparseL19hyb2csr_fill_kernelILj256EfEEviiiiPKiPKT0_iS2_S2_S5_S2_PiPS3_21rocsparse_index_base_.has_indirect_call, 0
	.section	.AMDGPU.csdata,"",@progbits
; Kernel info:
; codeLenInByte = 592
; TotalNumSgprs: 26
; NumVgprs: 12
; ScratchSize: 0
; MemoryBound: 0
; FloatMode: 240
; IeeeMode: 1
; LDSByteSize: 0 bytes/workgroup (compile time only)
; SGPRBlocks: 0
; VGPRBlocks: 0
; NumSGPRsForWavesPerEU: 26
; NumVGPRsForWavesPerEU: 12
; NamedBarCnt: 0
; Occupancy: 16
; WaveLimiterHint : 0
; COMPUTE_PGM_RSRC2:SCRATCH_EN: 0
; COMPUTE_PGM_RSRC2:USER_SGPR: 2
; COMPUTE_PGM_RSRC2:TRAP_HANDLER: 0
; COMPUTE_PGM_RSRC2:TGID_X_EN: 1
; COMPUTE_PGM_RSRC2:TGID_Y_EN: 0
; COMPUTE_PGM_RSRC2:TGID_Z_EN: 0
; COMPUTE_PGM_RSRC2:TIDIG_COMP_CNT: 0
	.section	.text._ZN9rocsparseL19hyb2csr_fill_kernelILj256EdEEviiiiPKiPKT0_iS2_S2_S5_S2_PiPS3_21rocsparse_index_base_,"axG",@progbits,_ZN9rocsparseL19hyb2csr_fill_kernelILj256EdEEviiiiPKiPKT0_iS2_S2_S5_S2_PiPS3_21rocsparse_index_base_,comdat
	.globl	_ZN9rocsparseL19hyb2csr_fill_kernelILj256EdEEviiiiPKiPKT0_iS2_S2_S5_S2_PiPS3_21rocsparse_index_base_ ; -- Begin function _ZN9rocsparseL19hyb2csr_fill_kernelILj256EdEEviiiiPKiPKT0_iS2_S2_S5_S2_PiPS3_21rocsparse_index_base_
	.p2align	8
	.type	_ZN9rocsparseL19hyb2csr_fill_kernelILj256EdEEviiiiPKiPKT0_iS2_S2_S5_S2_PiPS3_21rocsparse_index_base_,@function
_ZN9rocsparseL19hyb2csr_fill_kernelILj256EdEEviiiiPKiPKT0_iS2_S2_S5_S2_PiPS3_21rocsparse_index_base_: ; @_ZN9rocsparseL19hyb2csr_fill_kernelILj256EdEEviiiiPKiPKT0_iS2_S2_S5_S2_PiPS3_21rocsparse_index_base_
; %bb.0:
	s_load_b128 s[16:19], s[0:1], 0x0
	s_bfe_u32 s2, ttmp6, 0x4000c
	s_and_b32 s3, ttmp6, 15
	s_add_co_i32 s2, s2, 1
	s_getreg_b32 s4, hwreg(HW_REG_IB_STS2, 6, 4)
	s_mul_i32 s2, ttmp9, s2
	s_delay_alu instid0(SALU_CYCLE_1) | instskip(SKIP_2) | instid1(SALU_CYCLE_1)
	s_add_co_i32 s3, s3, s2
	s_cmp_eq_u32 s4, 0
	s_cselect_b32 s2, ttmp9, s3
	v_lshl_or_b32 v2, s2, 8, v0
	s_mov_b32 s2, exec_lo
	s_wait_kmcnt 0x0
	s_delay_alu instid0(VALU_DEP_1)
	v_cmpx_gt_i32_e64 s16, v2
	s_cbranch_execz .LBB2_11
; %bb.1:
	s_load_b256 s[4:11], s[0:1], 0x28
	v_ashrrev_i32_e32 v3, 31, v2
	s_min_i32 s2, s18, s19
	s_delay_alu instid0(SALU_CYCLE_1)
	s_cmp_lt_i32 s2, 1
	s_wait_kmcnt 0x0
	global_load_b32 v0, v2, s[10:11] scale_offset
	s_clause 0x1
	s_load_b32 s3, s[0:1], 0x58
	s_load_b128 s[12:15], s[0:1], 0x48
	s_wait_loadcnt 0x0
	s_wait_kmcnt 0x0
	v_subrev_nc_u32_e32 v0, s3, v0
	s_cbranch_scc1 .LBB2_7
; %bb.2:
	s_load_b128 s[20:23], s[0:1], 0x10
	s_add_co_i32 s2, s19, -1
	s_delay_alu instid0(SALU_CYCLE_1)
	v_dual_mov_b32 v4, v2 :: v_dual_mov_b32 v1, s2
	s_add_co_i32 s11, s3, s17
	s_mov_b32 s10, 0
	s_branch .LBB2_4
.LBB2_3:                                ;   in Loop: Header=BB2_4 Depth=1
	s_or_b32 exec_lo, exec_lo, s17
	v_sub_co_u32 v1, s17, v1, 1
	s_or_b32 s2, s2, s17
	v_add_nc_u32_e32 v4, s16, v4
	s_and_b32 s2, exec_lo, s2
	s_delay_alu instid0(SALU_CYCLE_1) | instskip(NEXT) | instid1(SALU_CYCLE_1)
	s_or_b32 s10, s2, s10
	s_and_not1_b32 exec_lo, exec_lo, s10
	s_cbranch_execz .LBB2_6
.LBB2_4:                                ; =>This Inner Loop Header: Depth=1
	s_wait_kmcnt 0x0
	global_load_b32 v6, v4, s[20:21] scale_offset
	v_ashrrev_i32_e32 v5, 31, v4
	s_wait_loadcnt 0x0
	v_cmp_gt_i32_e32 vcc_lo, s3, v6
	v_cmp_le_i32_e64 s2, s11, v6
	s_or_b32 s2, vcc_lo, s2
	s_delay_alu instid0(SALU_CYCLE_1)
	s_xor_b32 s18, s2, -1
	s_wait_xcnt 0x0
	s_and_saveexec_b32 s17, s18
	s_cbranch_execz .LBB2_3
; %bb.5:                                ;   in Loop: Header=BB2_4 Depth=1
	v_lshl_add_u64 v[8:9], v[4:5], 3, s[22:23]
	v_add_nc_u32_e32 v5, 1, v0
	global_load_b64 v[8:9], v[8:9], off
	global_store_b32 v0, v6, s[12:13] scale_offset
	s_wait_loadcnt 0x0
	global_store_b64 v0, v[8:9], s[14:15] scale_offset
	s_wait_xcnt 0x0
	v_mov_b32_e32 v0, v5
	s_branch .LBB2_3
.LBB2_6:
	s_or_b32 exec_lo, exec_lo, s10
.LBB2_7:
	s_load_b32 s0, s[0:1], 0x20
	s_wait_kmcnt 0x0
	s_cmp_lt_i32 s0, 1
	s_cbranch_scc1 .LBB2_11
; %bb.8:
	v_lshl_add_u64 v[2:3], v[2:3], 2, s[4:5]
	global_load_b64 v[4:5], v[2:3], off
	s_wait_loadcnt 0x0
	v_cmp_lt_i32_e32 vcc_lo, v4, v5
	s_wait_xcnt 0x0
	s_and_b32 exec_lo, exec_lo, vcc_lo
	s_cbranch_execz .LBB2_11
; %bb.9:
	v_subrev_nc_u32_e32 v2, s3, v4
	v_ashrrev_i32_e32 v1, 31, v0
	v_subrev_nc_u32_e32 v10, s3, v5
	s_mov_b32 s0, 0
	s_delay_alu instid0(VALU_DEP_3) | instskip(NEXT) | instid1(VALU_DEP_3)
	v_ashrrev_i32_e32 v3, 31, v2
	v_lshl_add_u64 v[4:5], v[0:1], 2, s[12:13]
	v_lshl_add_u64 v[0:1], v[0:1], 3, s[14:15]
	s_delay_alu instid0(VALU_DEP_3)
	v_lshl_add_u64 v[6:7], v[2:3], 2, s[6:7]
	v_lshl_add_u64 v[8:9], v[2:3], 3, s[8:9]
.LBB2_10:                               ; =>This Inner Loop Header: Depth=1
	global_load_b32 v3, v[6:7], off
	global_load_b64 v[12:13], v[8:9], off
	v_add_nc_u32_e32 v2, 1, v2
	s_wait_xcnt 0x1
	v_add_nc_u64_e32 v[6:7], 4, v[6:7]
	s_wait_xcnt 0x0
	v_add_nc_u64_e32 v[8:9], 8, v[8:9]
	s_wait_loadcnt 0x1
	global_store_b32 v[4:5], v3, off
	s_wait_loadcnt 0x0
	global_store_b64 v[0:1], v[12:13], off
	v_cmp_ge_i32_e32 vcc_lo, v2, v10
	s_wait_xcnt 0x1
	v_add_nc_u64_e32 v[4:5], 4, v[4:5]
	s_wait_xcnt 0x0
	v_add_nc_u64_e32 v[0:1], 8, v[0:1]
	s_or_b32 s0, vcc_lo, s0
	s_delay_alu instid0(SALU_CYCLE_1)
	s_and_not1_b32 exec_lo, exec_lo, s0
	s_cbranch_execnz .LBB2_10
.LBB2_11:
	s_endpgm
	.section	.rodata,"a",@progbits
	.p2align	6, 0x0
	.amdhsa_kernel _ZN9rocsparseL19hyb2csr_fill_kernelILj256EdEEviiiiPKiPKT0_iS2_S2_S5_S2_PiPS3_21rocsparse_index_base_
		.amdhsa_group_segment_fixed_size 0
		.amdhsa_private_segment_fixed_size 0
		.amdhsa_kernarg_size 92
		.amdhsa_user_sgpr_count 2
		.amdhsa_user_sgpr_dispatch_ptr 0
		.amdhsa_user_sgpr_queue_ptr 0
		.amdhsa_user_sgpr_kernarg_segment_ptr 1
		.amdhsa_user_sgpr_dispatch_id 0
		.amdhsa_user_sgpr_kernarg_preload_length 0
		.amdhsa_user_sgpr_kernarg_preload_offset 0
		.amdhsa_user_sgpr_private_segment_size 0
		.amdhsa_wavefront_size32 1
		.amdhsa_uses_dynamic_stack 0
		.amdhsa_enable_private_segment 0
		.amdhsa_system_sgpr_workgroup_id_x 1
		.amdhsa_system_sgpr_workgroup_id_y 0
		.amdhsa_system_sgpr_workgroup_id_z 0
		.amdhsa_system_sgpr_workgroup_info 0
		.amdhsa_system_vgpr_workitem_id 0
		.amdhsa_next_free_vgpr 14
		.amdhsa_next_free_sgpr 24
		.amdhsa_named_barrier_count 0
		.amdhsa_reserve_vcc 1
		.amdhsa_float_round_mode_32 0
		.amdhsa_float_round_mode_16_64 0
		.amdhsa_float_denorm_mode_32 3
		.amdhsa_float_denorm_mode_16_64 3
		.amdhsa_fp16_overflow 0
		.amdhsa_memory_ordered 1
		.amdhsa_forward_progress 1
		.amdhsa_inst_pref_size 5
		.amdhsa_round_robin_scheduling 0
		.amdhsa_exception_fp_ieee_invalid_op 0
		.amdhsa_exception_fp_denorm_src 0
		.amdhsa_exception_fp_ieee_div_zero 0
		.amdhsa_exception_fp_ieee_overflow 0
		.amdhsa_exception_fp_ieee_underflow 0
		.amdhsa_exception_fp_ieee_inexact 0
		.amdhsa_exception_int_div_zero 0
	.end_amdhsa_kernel
	.section	.text._ZN9rocsparseL19hyb2csr_fill_kernelILj256EdEEviiiiPKiPKT0_iS2_S2_S5_S2_PiPS3_21rocsparse_index_base_,"axG",@progbits,_ZN9rocsparseL19hyb2csr_fill_kernelILj256EdEEviiiiPKiPKT0_iS2_S2_S5_S2_PiPS3_21rocsparse_index_base_,comdat
.Lfunc_end2:
	.size	_ZN9rocsparseL19hyb2csr_fill_kernelILj256EdEEviiiiPKiPKT0_iS2_S2_S5_S2_PiPS3_21rocsparse_index_base_, .Lfunc_end2-_ZN9rocsparseL19hyb2csr_fill_kernelILj256EdEEviiiiPKiPKT0_iS2_S2_S5_S2_PiPS3_21rocsparse_index_base_
                                        ; -- End function
	.set _ZN9rocsparseL19hyb2csr_fill_kernelILj256EdEEviiiiPKiPKT0_iS2_S2_S5_S2_PiPS3_21rocsparse_index_base_.num_vgpr, 14
	.set _ZN9rocsparseL19hyb2csr_fill_kernelILj256EdEEviiiiPKiPKT0_iS2_S2_S5_S2_PiPS3_21rocsparse_index_base_.num_agpr, 0
	.set _ZN9rocsparseL19hyb2csr_fill_kernelILj256EdEEviiiiPKiPKT0_iS2_S2_S5_S2_PiPS3_21rocsparse_index_base_.numbered_sgpr, 24
	.set _ZN9rocsparseL19hyb2csr_fill_kernelILj256EdEEviiiiPKiPKT0_iS2_S2_S5_S2_PiPS3_21rocsparse_index_base_.num_named_barrier, 0
	.set _ZN9rocsparseL19hyb2csr_fill_kernelILj256EdEEviiiiPKiPKT0_iS2_S2_S5_S2_PiPS3_21rocsparse_index_base_.private_seg_size, 0
	.set _ZN9rocsparseL19hyb2csr_fill_kernelILj256EdEEviiiiPKiPKT0_iS2_S2_S5_S2_PiPS3_21rocsparse_index_base_.uses_vcc, 1
	.set _ZN9rocsparseL19hyb2csr_fill_kernelILj256EdEEviiiiPKiPKT0_iS2_S2_S5_S2_PiPS3_21rocsparse_index_base_.uses_flat_scratch, 0
	.set _ZN9rocsparseL19hyb2csr_fill_kernelILj256EdEEviiiiPKiPKT0_iS2_S2_S5_S2_PiPS3_21rocsparse_index_base_.has_dyn_sized_stack, 0
	.set _ZN9rocsparseL19hyb2csr_fill_kernelILj256EdEEviiiiPKiPKT0_iS2_S2_S5_S2_PiPS3_21rocsparse_index_base_.has_recursion, 0
	.set _ZN9rocsparseL19hyb2csr_fill_kernelILj256EdEEviiiiPKiPKT0_iS2_S2_S5_S2_PiPS3_21rocsparse_index_base_.has_indirect_call, 0
	.section	.AMDGPU.csdata,"",@progbits
; Kernel info:
; codeLenInByte = 596
; TotalNumSgprs: 26
; NumVgprs: 14
; ScratchSize: 0
; MemoryBound: 0
; FloatMode: 240
; IeeeMode: 1
; LDSByteSize: 0 bytes/workgroup (compile time only)
; SGPRBlocks: 0
; VGPRBlocks: 0
; NumSGPRsForWavesPerEU: 26
; NumVGPRsForWavesPerEU: 14
; NamedBarCnt: 0
; Occupancy: 16
; WaveLimiterHint : 0
; COMPUTE_PGM_RSRC2:SCRATCH_EN: 0
; COMPUTE_PGM_RSRC2:USER_SGPR: 2
; COMPUTE_PGM_RSRC2:TRAP_HANDLER: 0
; COMPUTE_PGM_RSRC2:TGID_X_EN: 1
; COMPUTE_PGM_RSRC2:TGID_Y_EN: 0
; COMPUTE_PGM_RSRC2:TGID_Z_EN: 0
; COMPUTE_PGM_RSRC2:TIDIG_COMP_CNT: 0
	.section	.text._ZN9rocsparseL19hyb2csr_fill_kernelILj256E21rocsparse_complex_numIfEEEviiiiPKiPKT0_iS4_S4_S7_S4_PiPS5_21rocsparse_index_base_,"axG",@progbits,_ZN9rocsparseL19hyb2csr_fill_kernelILj256E21rocsparse_complex_numIfEEEviiiiPKiPKT0_iS4_S4_S7_S4_PiPS5_21rocsparse_index_base_,comdat
	.globl	_ZN9rocsparseL19hyb2csr_fill_kernelILj256E21rocsparse_complex_numIfEEEviiiiPKiPKT0_iS4_S4_S7_S4_PiPS5_21rocsparse_index_base_ ; -- Begin function _ZN9rocsparseL19hyb2csr_fill_kernelILj256E21rocsparse_complex_numIfEEEviiiiPKiPKT0_iS4_S4_S7_S4_PiPS5_21rocsparse_index_base_
	.p2align	8
	.type	_ZN9rocsparseL19hyb2csr_fill_kernelILj256E21rocsparse_complex_numIfEEEviiiiPKiPKT0_iS4_S4_S7_S4_PiPS5_21rocsparse_index_base_,@function
_ZN9rocsparseL19hyb2csr_fill_kernelILj256E21rocsparse_complex_numIfEEEviiiiPKiPKT0_iS4_S4_S7_S4_PiPS5_21rocsparse_index_base_: ; @_ZN9rocsparseL19hyb2csr_fill_kernelILj256E21rocsparse_complex_numIfEEEviiiiPKiPKT0_iS4_S4_S7_S4_PiPS5_21rocsparse_index_base_
; %bb.0:
	s_load_b128 s[16:19], s[0:1], 0x0
	s_bfe_u32 s2, ttmp6, 0x4000c
	s_and_b32 s3, ttmp6, 15
	s_add_co_i32 s2, s2, 1
	s_getreg_b32 s4, hwreg(HW_REG_IB_STS2, 6, 4)
	s_mul_i32 s2, ttmp9, s2
	s_delay_alu instid0(SALU_CYCLE_1) | instskip(SKIP_2) | instid1(SALU_CYCLE_1)
	s_add_co_i32 s3, s3, s2
	s_cmp_eq_u32 s4, 0
	s_cselect_b32 s2, ttmp9, s3
	v_lshl_or_b32 v2, s2, 8, v0
	s_mov_b32 s2, exec_lo
	s_wait_kmcnt 0x0
	s_delay_alu instid0(VALU_DEP_1)
	v_cmpx_gt_i32_e64 s16, v2
	s_cbranch_execz .LBB3_11
; %bb.1:
	s_load_b256 s[4:11], s[0:1], 0x28
	v_ashrrev_i32_e32 v3, 31, v2
	s_min_i32 s2, s18, s19
	s_delay_alu instid0(SALU_CYCLE_1)
	s_cmp_lt_i32 s2, 1
	s_wait_kmcnt 0x0
	global_load_b32 v0, v2, s[10:11] scale_offset
	s_clause 0x1
	s_load_b32 s3, s[0:1], 0x58
	s_load_b128 s[12:15], s[0:1], 0x48
	s_wait_loadcnt 0x0
	s_wait_kmcnt 0x0
	v_subrev_nc_u32_e32 v0, s3, v0
	s_cbranch_scc1 .LBB3_7
; %bb.2:
	s_load_b128 s[20:23], s[0:1], 0x10
	s_add_co_i32 s2, s19, -1
	s_delay_alu instid0(SALU_CYCLE_1)
	v_dual_mov_b32 v4, v2 :: v_dual_mov_b32 v1, s2
	s_add_co_i32 s11, s3, s17
	s_mov_b32 s10, 0
	s_branch .LBB3_4
.LBB3_3:                                ;   in Loop: Header=BB3_4 Depth=1
	s_or_b32 exec_lo, exec_lo, s17
	v_sub_co_u32 v1, s17, v1, 1
	s_or_b32 s2, s2, s17
	v_add_nc_u32_e32 v4, s16, v4
	s_and_b32 s2, exec_lo, s2
	s_delay_alu instid0(SALU_CYCLE_1) | instskip(NEXT) | instid1(SALU_CYCLE_1)
	s_or_b32 s10, s2, s10
	s_and_not1_b32 exec_lo, exec_lo, s10
	s_cbranch_execz .LBB3_6
.LBB3_4:                                ; =>This Inner Loop Header: Depth=1
	s_wait_kmcnt 0x0
	global_load_b32 v6, v4, s[20:21] scale_offset
	v_ashrrev_i32_e32 v5, 31, v4
	s_wait_loadcnt 0x0
	v_cmp_gt_i32_e32 vcc_lo, s3, v6
	v_cmp_le_i32_e64 s2, s11, v6
	s_or_b32 s2, vcc_lo, s2
	s_delay_alu instid0(SALU_CYCLE_1)
	s_xor_b32 s18, s2, -1
	s_wait_xcnt 0x0
	s_and_saveexec_b32 s17, s18
	s_cbranch_execz .LBB3_3
; %bb.5:                                ;   in Loop: Header=BB3_4 Depth=1
	v_lshl_add_u64 v[8:9], v[4:5], 3, s[22:23]
	global_store_b32 v0, v6, s[12:13] scale_offset
	v_add_nc_u32_e32 v5, 1, v0
	global_load_b64 v[6:7], v[8:9], off
	s_wait_loadcnt 0x0
	global_store_b64 v0, v[6:7], s[14:15] scale_offset
	s_wait_xcnt 0x0
	v_mov_b32_e32 v0, v5
	s_branch .LBB3_3
.LBB3_6:
	s_or_b32 exec_lo, exec_lo, s10
.LBB3_7:
	s_load_b32 s0, s[0:1], 0x20
	s_wait_kmcnt 0x0
	s_cmp_lt_i32 s0, 1
	s_cbranch_scc1 .LBB3_11
; %bb.8:
	v_lshl_add_u64 v[2:3], v[2:3], 2, s[4:5]
	global_load_b64 v[4:5], v[2:3], off
	s_wait_loadcnt 0x0
	v_cmp_lt_i32_e32 vcc_lo, v4, v5
	s_wait_xcnt 0x0
	s_and_b32 exec_lo, exec_lo, vcc_lo
	s_cbranch_execz .LBB3_11
; %bb.9:
	v_subrev_nc_u32_e32 v2, s3, v4
	v_ashrrev_i32_e32 v1, 31, v0
	v_subrev_nc_u32_e32 v10, s3, v5
	s_mov_b32 s0, 0
	s_delay_alu instid0(VALU_DEP_3) | instskip(NEXT) | instid1(VALU_DEP_3)
	v_ashrrev_i32_e32 v3, 31, v2
	v_lshl_add_u64 v[4:5], v[0:1], 2, s[12:13]
	v_lshl_add_u64 v[0:1], v[0:1], 3, s[14:15]
	s_delay_alu instid0(VALU_DEP_3)
	v_lshl_add_u64 v[6:7], v[2:3], 2, s[6:7]
	v_lshl_add_u64 v[8:9], v[2:3], 3, s[8:9]
.LBB3_10:                               ; =>This Inner Loop Header: Depth=1
	global_load_b32 v3, v[6:7], off
	v_add_nc_u32_e32 v2, 1, v2
	s_wait_xcnt 0x0
	v_add_nc_u64_e32 v[6:7], 4, v[6:7]
	s_delay_alu instid0(VALU_DEP_2)
	v_cmp_ge_i32_e32 vcc_lo, v2, v10
	s_or_b32 s0, vcc_lo, s0
	s_wait_loadcnt 0x0
	global_store_b32 v[4:5], v3, off
	global_load_b64 v[12:13], v[8:9], off
	s_wait_xcnt 0x1
	v_add_nc_u64_e32 v[4:5], 4, v[4:5]
	s_wait_xcnt 0x0
	v_add_nc_u64_e32 v[8:9], 8, v[8:9]
	s_wait_loadcnt 0x0
	global_store_b64 v[0:1], v[12:13], off
	s_wait_xcnt 0x0
	v_add_nc_u64_e32 v[0:1], 8, v[0:1]
	s_and_not1_b32 exec_lo, exec_lo, s0
	s_cbranch_execnz .LBB3_10
.LBB3_11:
	s_endpgm
	.section	.rodata,"a",@progbits
	.p2align	6, 0x0
	.amdhsa_kernel _ZN9rocsparseL19hyb2csr_fill_kernelILj256E21rocsparse_complex_numIfEEEviiiiPKiPKT0_iS4_S4_S7_S4_PiPS5_21rocsparse_index_base_
		.amdhsa_group_segment_fixed_size 0
		.amdhsa_private_segment_fixed_size 0
		.amdhsa_kernarg_size 92
		.amdhsa_user_sgpr_count 2
		.amdhsa_user_sgpr_dispatch_ptr 0
		.amdhsa_user_sgpr_queue_ptr 0
		.amdhsa_user_sgpr_kernarg_segment_ptr 1
		.amdhsa_user_sgpr_dispatch_id 0
		.amdhsa_user_sgpr_kernarg_preload_length 0
		.amdhsa_user_sgpr_kernarg_preload_offset 0
		.amdhsa_user_sgpr_private_segment_size 0
		.amdhsa_wavefront_size32 1
		.amdhsa_uses_dynamic_stack 0
		.amdhsa_enable_private_segment 0
		.amdhsa_system_sgpr_workgroup_id_x 1
		.amdhsa_system_sgpr_workgroup_id_y 0
		.amdhsa_system_sgpr_workgroup_id_z 0
		.amdhsa_system_sgpr_workgroup_info 0
		.amdhsa_system_vgpr_workitem_id 0
		.amdhsa_next_free_vgpr 14
		.amdhsa_next_free_sgpr 24
		.amdhsa_named_barrier_count 0
		.amdhsa_reserve_vcc 1
		.amdhsa_float_round_mode_32 0
		.amdhsa_float_round_mode_16_64 0
		.amdhsa_float_denorm_mode_32 3
		.amdhsa_float_denorm_mode_16_64 3
		.amdhsa_fp16_overflow 0
		.amdhsa_memory_ordered 1
		.amdhsa_forward_progress 1
		.amdhsa_inst_pref_size 5
		.amdhsa_round_robin_scheduling 0
		.amdhsa_exception_fp_ieee_invalid_op 0
		.amdhsa_exception_fp_denorm_src 0
		.amdhsa_exception_fp_ieee_div_zero 0
		.amdhsa_exception_fp_ieee_overflow 0
		.amdhsa_exception_fp_ieee_underflow 0
		.amdhsa_exception_fp_ieee_inexact 0
		.amdhsa_exception_int_div_zero 0
	.end_amdhsa_kernel
	.section	.text._ZN9rocsparseL19hyb2csr_fill_kernelILj256E21rocsparse_complex_numIfEEEviiiiPKiPKT0_iS4_S4_S7_S4_PiPS5_21rocsparse_index_base_,"axG",@progbits,_ZN9rocsparseL19hyb2csr_fill_kernelILj256E21rocsparse_complex_numIfEEEviiiiPKiPKT0_iS4_S4_S7_S4_PiPS5_21rocsparse_index_base_,comdat
.Lfunc_end3:
	.size	_ZN9rocsparseL19hyb2csr_fill_kernelILj256E21rocsparse_complex_numIfEEEviiiiPKiPKT0_iS4_S4_S7_S4_PiPS5_21rocsparse_index_base_, .Lfunc_end3-_ZN9rocsparseL19hyb2csr_fill_kernelILj256E21rocsparse_complex_numIfEEEviiiiPKiPKT0_iS4_S4_S7_S4_PiPS5_21rocsparse_index_base_
                                        ; -- End function
	.set _ZN9rocsparseL19hyb2csr_fill_kernelILj256E21rocsparse_complex_numIfEEEviiiiPKiPKT0_iS4_S4_S7_S4_PiPS5_21rocsparse_index_base_.num_vgpr, 14
	.set _ZN9rocsparseL19hyb2csr_fill_kernelILj256E21rocsparse_complex_numIfEEEviiiiPKiPKT0_iS4_S4_S7_S4_PiPS5_21rocsparse_index_base_.num_agpr, 0
	.set _ZN9rocsparseL19hyb2csr_fill_kernelILj256E21rocsparse_complex_numIfEEEviiiiPKiPKT0_iS4_S4_S7_S4_PiPS5_21rocsparse_index_base_.numbered_sgpr, 24
	.set _ZN9rocsparseL19hyb2csr_fill_kernelILj256E21rocsparse_complex_numIfEEEviiiiPKiPKT0_iS4_S4_S7_S4_PiPS5_21rocsparse_index_base_.num_named_barrier, 0
	.set _ZN9rocsparseL19hyb2csr_fill_kernelILj256E21rocsparse_complex_numIfEEEviiiiPKiPKT0_iS4_S4_S7_S4_PiPS5_21rocsparse_index_base_.private_seg_size, 0
	.set _ZN9rocsparseL19hyb2csr_fill_kernelILj256E21rocsparse_complex_numIfEEEviiiiPKiPKT0_iS4_S4_S7_S4_PiPS5_21rocsparse_index_base_.uses_vcc, 1
	.set _ZN9rocsparseL19hyb2csr_fill_kernelILj256E21rocsparse_complex_numIfEEEviiiiPKiPKT0_iS4_S4_S7_S4_PiPS5_21rocsparse_index_base_.uses_flat_scratch, 0
	.set _ZN9rocsparseL19hyb2csr_fill_kernelILj256E21rocsparse_complex_numIfEEEviiiiPKiPKT0_iS4_S4_S7_S4_PiPS5_21rocsparse_index_base_.has_dyn_sized_stack, 0
	.set _ZN9rocsparseL19hyb2csr_fill_kernelILj256E21rocsparse_complex_numIfEEEviiiiPKiPKT0_iS4_S4_S7_S4_PiPS5_21rocsparse_index_base_.has_recursion, 0
	.set _ZN9rocsparseL19hyb2csr_fill_kernelILj256E21rocsparse_complex_numIfEEEviiiiPKiPKT0_iS4_S4_S7_S4_PiPS5_21rocsparse_index_base_.has_indirect_call, 0
	.section	.AMDGPU.csdata,"",@progbits
; Kernel info:
; codeLenInByte = 596
; TotalNumSgprs: 26
; NumVgprs: 14
; ScratchSize: 0
; MemoryBound: 0
; FloatMode: 240
; IeeeMode: 1
; LDSByteSize: 0 bytes/workgroup (compile time only)
; SGPRBlocks: 0
; VGPRBlocks: 0
; NumSGPRsForWavesPerEU: 26
; NumVGPRsForWavesPerEU: 14
; NamedBarCnt: 0
; Occupancy: 16
; WaveLimiterHint : 0
; COMPUTE_PGM_RSRC2:SCRATCH_EN: 0
; COMPUTE_PGM_RSRC2:USER_SGPR: 2
; COMPUTE_PGM_RSRC2:TRAP_HANDLER: 0
; COMPUTE_PGM_RSRC2:TGID_X_EN: 1
; COMPUTE_PGM_RSRC2:TGID_Y_EN: 0
; COMPUTE_PGM_RSRC2:TGID_Z_EN: 0
; COMPUTE_PGM_RSRC2:TIDIG_COMP_CNT: 0
	.section	.text._ZN9rocsparseL19hyb2csr_fill_kernelILj256E21rocsparse_complex_numIdEEEviiiiPKiPKT0_iS4_S4_S7_S4_PiPS5_21rocsparse_index_base_,"axG",@progbits,_ZN9rocsparseL19hyb2csr_fill_kernelILj256E21rocsparse_complex_numIdEEEviiiiPKiPKT0_iS4_S4_S7_S4_PiPS5_21rocsparse_index_base_,comdat
	.globl	_ZN9rocsparseL19hyb2csr_fill_kernelILj256E21rocsparse_complex_numIdEEEviiiiPKiPKT0_iS4_S4_S7_S4_PiPS5_21rocsparse_index_base_ ; -- Begin function _ZN9rocsparseL19hyb2csr_fill_kernelILj256E21rocsparse_complex_numIdEEEviiiiPKiPKT0_iS4_S4_S7_S4_PiPS5_21rocsparse_index_base_
	.p2align	8
	.type	_ZN9rocsparseL19hyb2csr_fill_kernelILj256E21rocsparse_complex_numIdEEEviiiiPKiPKT0_iS4_S4_S7_S4_PiPS5_21rocsparse_index_base_,@function
_ZN9rocsparseL19hyb2csr_fill_kernelILj256E21rocsparse_complex_numIdEEEviiiiPKiPKT0_iS4_S4_S7_S4_PiPS5_21rocsparse_index_base_: ; @_ZN9rocsparseL19hyb2csr_fill_kernelILj256E21rocsparse_complex_numIdEEEviiiiPKiPKT0_iS4_S4_S7_S4_PiPS5_21rocsparse_index_base_
; %bb.0:
	s_load_b128 s[16:19], s[0:1], 0x0
	s_bfe_u32 s2, ttmp6, 0x4000c
	s_and_b32 s3, ttmp6, 15
	s_add_co_i32 s2, s2, 1
	s_getreg_b32 s4, hwreg(HW_REG_IB_STS2, 6, 4)
	s_mul_i32 s2, ttmp9, s2
	s_delay_alu instid0(SALU_CYCLE_1) | instskip(SKIP_2) | instid1(SALU_CYCLE_1)
	s_add_co_i32 s3, s3, s2
	s_cmp_eq_u32 s4, 0
	s_cselect_b32 s2, ttmp9, s3
	v_lshl_or_b32 v2, s2, 8, v0
	s_mov_b32 s2, exec_lo
	s_wait_kmcnt 0x0
	s_delay_alu instid0(VALU_DEP_1)
	v_cmpx_gt_i32_e64 s16, v2
	s_cbranch_execz .LBB4_11
; %bb.1:
	s_load_b256 s[4:11], s[0:1], 0x28
	v_ashrrev_i32_e32 v3, 31, v2
	s_min_i32 s2, s18, s19
	s_delay_alu instid0(SALU_CYCLE_1)
	s_cmp_lt_i32 s2, 1
	s_wait_kmcnt 0x0
	global_load_b32 v0, v2, s[10:11] scale_offset
	s_clause 0x1
	s_load_b32 s3, s[0:1], 0x58
	s_load_b128 s[12:15], s[0:1], 0x48
	s_wait_loadcnt 0x0
	s_wait_kmcnt 0x0
	v_subrev_nc_u32_e32 v0, s3, v0
	s_cbranch_scc1 .LBB4_7
; %bb.2:
	s_load_b128 s[20:23], s[0:1], 0x10
	s_add_co_i32 s2, s19, -1
	s_delay_alu instid0(SALU_CYCLE_1)
	v_dual_mov_b32 v4, v2 :: v_dual_mov_b32 v1, s2
	s_add_co_i32 s11, s3, s17
	s_mov_b32 s10, 0
	s_branch .LBB4_4
.LBB4_3:                                ;   in Loop: Header=BB4_4 Depth=1
	s_or_b32 exec_lo, exec_lo, s17
	v_sub_co_u32 v1, s17, v1, 1
	s_or_b32 s2, s2, s17
	v_add_nc_u32_e32 v4, s16, v4
	s_and_b32 s2, exec_lo, s2
	s_delay_alu instid0(SALU_CYCLE_1) | instskip(NEXT) | instid1(SALU_CYCLE_1)
	s_or_b32 s10, s2, s10
	s_and_not1_b32 exec_lo, exec_lo, s10
	s_cbranch_execz .LBB4_6
.LBB4_4:                                ; =>This Inner Loop Header: Depth=1
	s_wait_kmcnt 0x0
	global_load_b32 v6, v4, s[20:21] scale_offset
	v_ashrrev_i32_e32 v5, 31, v4
	s_wait_loadcnt 0x0
	v_cmp_gt_i32_e32 vcc_lo, s3, v6
	v_cmp_le_i32_e64 s2, s11, v6
	s_or_b32 s2, vcc_lo, s2
	s_delay_alu instid0(SALU_CYCLE_1)
	s_xor_b32 s18, s2, -1
	s_wait_xcnt 0x0
	s_and_saveexec_b32 s17, s18
	s_cbranch_execz .LBB4_3
; %bb.5:                                ;   in Loop: Header=BB4_4 Depth=1
	v_lshl_add_u64 v[8:9], v[4:5], 4, s[22:23]
	global_store_b32 v0, v6, s[12:13] scale_offset
	v_add_nc_u32_e32 v5, 1, v0
	global_load_b128 v[6:9], v[8:9], off
	s_wait_loadcnt 0x0
	global_store_b128 v0, v[6:9], s[14:15] scale_offset
	s_wait_xcnt 0x0
	v_mov_b32_e32 v0, v5
	s_branch .LBB4_3
.LBB4_6:
	s_or_b32 exec_lo, exec_lo, s10
.LBB4_7:
	s_load_b32 s0, s[0:1], 0x20
	s_wait_kmcnt 0x0
	s_cmp_lt_i32 s0, 1
	s_cbranch_scc1 .LBB4_11
; %bb.8:
	v_lshl_add_u64 v[2:3], v[2:3], 2, s[4:5]
	global_load_b64 v[4:5], v[2:3], off
	s_wait_loadcnt 0x0
	v_cmp_lt_i32_e32 vcc_lo, v4, v5
	s_wait_xcnt 0x0
	s_and_b32 exec_lo, exec_lo, vcc_lo
	s_cbranch_execz .LBB4_11
; %bb.9:
	v_subrev_nc_u32_e32 v2, s3, v4
	v_ashrrev_i32_e32 v1, 31, v0
	v_subrev_nc_u32_e32 v10, s3, v5
	s_mov_b32 s0, 0
	s_delay_alu instid0(VALU_DEP_3) | instskip(NEXT) | instid1(VALU_DEP_3)
	v_ashrrev_i32_e32 v3, 31, v2
	v_lshl_add_u64 v[4:5], v[0:1], 2, s[12:13]
	v_lshl_add_u64 v[0:1], v[0:1], 4, s[14:15]
	s_delay_alu instid0(VALU_DEP_3)
	v_lshl_add_u64 v[6:7], v[2:3], 2, s[6:7]
	v_lshl_add_u64 v[8:9], v[2:3], 4, s[8:9]
.LBB4_10:                               ; =>This Inner Loop Header: Depth=1
	global_load_b32 v3, v[6:7], off
	v_add_nc_u32_e32 v2, 1, v2
	s_wait_xcnt 0x0
	v_add_nc_u64_e32 v[6:7], 4, v[6:7]
	s_delay_alu instid0(VALU_DEP_2)
	v_cmp_ge_i32_e32 vcc_lo, v2, v10
	s_or_b32 s0, vcc_lo, s0
	s_wait_loadcnt 0x0
	global_store_b32 v[4:5], v3, off
	global_load_b128 v[12:15], v[8:9], off
	s_wait_xcnt 0x1
	v_add_nc_u64_e32 v[4:5], 4, v[4:5]
	s_wait_xcnt 0x0
	v_add_nc_u64_e32 v[8:9], 16, v[8:9]
	s_wait_loadcnt 0x0
	global_store_b128 v[0:1], v[12:15], off
	s_wait_xcnt 0x0
	v_add_nc_u64_e32 v[0:1], 16, v[0:1]
	s_and_not1_b32 exec_lo, exec_lo, s0
	s_cbranch_execnz .LBB4_10
.LBB4_11:
	s_endpgm
	.section	.rodata,"a",@progbits
	.p2align	6, 0x0
	.amdhsa_kernel _ZN9rocsparseL19hyb2csr_fill_kernelILj256E21rocsparse_complex_numIdEEEviiiiPKiPKT0_iS4_S4_S7_S4_PiPS5_21rocsparse_index_base_
		.amdhsa_group_segment_fixed_size 0
		.amdhsa_private_segment_fixed_size 0
		.amdhsa_kernarg_size 92
		.amdhsa_user_sgpr_count 2
		.amdhsa_user_sgpr_dispatch_ptr 0
		.amdhsa_user_sgpr_queue_ptr 0
		.amdhsa_user_sgpr_kernarg_segment_ptr 1
		.amdhsa_user_sgpr_dispatch_id 0
		.amdhsa_user_sgpr_kernarg_preload_length 0
		.amdhsa_user_sgpr_kernarg_preload_offset 0
		.amdhsa_user_sgpr_private_segment_size 0
		.amdhsa_wavefront_size32 1
		.amdhsa_uses_dynamic_stack 0
		.amdhsa_enable_private_segment 0
		.amdhsa_system_sgpr_workgroup_id_x 1
		.amdhsa_system_sgpr_workgroup_id_y 0
		.amdhsa_system_sgpr_workgroup_id_z 0
		.amdhsa_system_sgpr_workgroup_info 0
		.amdhsa_system_vgpr_workitem_id 0
		.amdhsa_next_free_vgpr 16
		.amdhsa_next_free_sgpr 24
		.amdhsa_named_barrier_count 0
		.amdhsa_reserve_vcc 1
		.amdhsa_float_round_mode_32 0
		.amdhsa_float_round_mode_16_64 0
		.amdhsa_float_denorm_mode_32 3
		.amdhsa_float_denorm_mode_16_64 3
		.amdhsa_fp16_overflow 0
		.amdhsa_memory_ordered 1
		.amdhsa_forward_progress 1
		.amdhsa_inst_pref_size 5
		.amdhsa_round_robin_scheduling 0
		.amdhsa_exception_fp_ieee_invalid_op 0
		.amdhsa_exception_fp_denorm_src 0
		.amdhsa_exception_fp_ieee_div_zero 0
		.amdhsa_exception_fp_ieee_overflow 0
		.amdhsa_exception_fp_ieee_underflow 0
		.amdhsa_exception_fp_ieee_inexact 0
		.amdhsa_exception_int_div_zero 0
	.end_amdhsa_kernel
	.section	.text._ZN9rocsparseL19hyb2csr_fill_kernelILj256E21rocsparse_complex_numIdEEEviiiiPKiPKT0_iS4_S4_S7_S4_PiPS5_21rocsparse_index_base_,"axG",@progbits,_ZN9rocsparseL19hyb2csr_fill_kernelILj256E21rocsparse_complex_numIdEEEviiiiPKiPKT0_iS4_S4_S7_S4_PiPS5_21rocsparse_index_base_,comdat
.Lfunc_end4:
	.size	_ZN9rocsparseL19hyb2csr_fill_kernelILj256E21rocsparse_complex_numIdEEEviiiiPKiPKT0_iS4_S4_S7_S4_PiPS5_21rocsparse_index_base_, .Lfunc_end4-_ZN9rocsparseL19hyb2csr_fill_kernelILj256E21rocsparse_complex_numIdEEEviiiiPKiPKT0_iS4_S4_S7_S4_PiPS5_21rocsparse_index_base_
                                        ; -- End function
	.set _ZN9rocsparseL19hyb2csr_fill_kernelILj256E21rocsparse_complex_numIdEEEviiiiPKiPKT0_iS4_S4_S7_S4_PiPS5_21rocsparse_index_base_.num_vgpr, 16
	.set _ZN9rocsparseL19hyb2csr_fill_kernelILj256E21rocsparse_complex_numIdEEEviiiiPKiPKT0_iS4_S4_S7_S4_PiPS5_21rocsparse_index_base_.num_agpr, 0
	.set _ZN9rocsparseL19hyb2csr_fill_kernelILj256E21rocsparse_complex_numIdEEEviiiiPKiPKT0_iS4_S4_S7_S4_PiPS5_21rocsparse_index_base_.numbered_sgpr, 24
	.set _ZN9rocsparseL19hyb2csr_fill_kernelILj256E21rocsparse_complex_numIdEEEviiiiPKiPKT0_iS4_S4_S7_S4_PiPS5_21rocsparse_index_base_.num_named_barrier, 0
	.set _ZN9rocsparseL19hyb2csr_fill_kernelILj256E21rocsparse_complex_numIdEEEviiiiPKiPKT0_iS4_S4_S7_S4_PiPS5_21rocsparse_index_base_.private_seg_size, 0
	.set _ZN9rocsparseL19hyb2csr_fill_kernelILj256E21rocsparse_complex_numIdEEEviiiiPKiPKT0_iS4_S4_S7_S4_PiPS5_21rocsparse_index_base_.uses_vcc, 1
	.set _ZN9rocsparseL19hyb2csr_fill_kernelILj256E21rocsparse_complex_numIdEEEviiiiPKiPKT0_iS4_S4_S7_S4_PiPS5_21rocsparse_index_base_.uses_flat_scratch, 0
	.set _ZN9rocsparseL19hyb2csr_fill_kernelILj256E21rocsparse_complex_numIdEEEviiiiPKiPKT0_iS4_S4_S7_S4_PiPS5_21rocsparse_index_base_.has_dyn_sized_stack, 0
	.set _ZN9rocsparseL19hyb2csr_fill_kernelILj256E21rocsparse_complex_numIdEEEviiiiPKiPKT0_iS4_S4_S7_S4_PiPS5_21rocsparse_index_base_.has_recursion, 0
	.set _ZN9rocsparseL19hyb2csr_fill_kernelILj256E21rocsparse_complex_numIdEEEviiiiPKiPKT0_iS4_S4_S7_S4_PiPS5_21rocsparse_index_base_.has_indirect_call, 0
	.section	.AMDGPU.csdata,"",@progbits
; Kernel info:
; codeLenInByte = 596
; TotalNumSgprs: 26
; NumVgprs: 16
; ScratchSize: 0
; MemoryBound: 0
; FloatMode: 240
; IeeeMode: 1
; LDSByteSize: 0 bytes/workgroup (compile time only)
; SGPRBlocks: 0
; VGPRBlocks: 0
; NumSGPRsForWavesPerEU: 26
; NumVGPRsForWavesPerEU: 16
; NamedBarCnt: 0
; Occupancy: 16
; WaveLimiterHint : 0
; COMPUTE_PGM_RSRC2:SCRATCH_EN: 0
; COMPUTE_PGM_RSRC2:USER_SGPR: 2
; COMPUTE_PGM_RSRC2:TRAP_HANDLER: 0
; COMPUTE_PGM_RSRC2:TGID_X_EN: 1
; COMPUTE_PGM_RSRC2:TGID_Y_EN: 0
; COMPUTE_PGM_RSRC2:TGID_Z_EN: 0
; COMPUTE_PGM_RSRC2:TIDIG_COMP_CNT: 0
	.section	.AMDGPU.gpr_maximums,"",@progbits
	.set amdgpu.max_num_vgpr, 0
	.set amdgpu.max_num_agpr, 0
	.set amdgpu.max_num_sgpr, 0
	.section	.AMDGPU.csdata,"",@progbits
	.type	__hip_cuid_19ff1931a743fea8,@object ; @__hip_cuid_19ff1931a743fea8
	.section	.bss,"aw",@nobits
	.globl	__hip_cuid_19ff1931a743fea8
__hip_cuid_19ff1931a743fea8:
	.byte	0                               ; 0x0
	.size	__hip_cuid_19ff1931a743fea8, 1

	.ident	"AMD clang version 22.0.0git (https://github.com/RadeonOpenCompute/llvm-project roc-7.2.4 26084 f58b06dce1f9c15707c5f808fd002e18c2accf7e)"
	.section	".note.GNU-stack","",@progbits
	.addrsig
	.addrsig_sym __hip_cuid_19ff1931a743fea8
	.amdgpu_metadata
---
amdhsa.kernels:
  - .args:
      - .offset:         0
        .size:           4
        .value_kind:     by_value
      - .offset:         4
        .size:           4
        .value_kind:     by_value
      - .offset:         8
        .size:           4
        .value_kind:     by_value
      - .offset:         12
        .size:           4
        .value_kind:     by_value
      - .address_space:  global
        .offset:         16
        .size:           8
        .value_kind:     global_buffer
      - .offset:         24
        .size:           4
        .value_kind:     by_value
      - .address_space:  global
        .offset:         32
        .size:           8
        .value_kind:     global_buffer
      - .address_space:  global
        .offset:         40
        .size:           8
        .value_kind:     global_buffer
      - .offset:         48
        .size:           4
        .value_kind:     by_value
    .group_segment_fixed_size: 0
    .kernarg_segment_align: 8
    .kernarg_segment_size: 52
    .language:       OpenCL C
    .language_version:
      - 2
      - 0
    .max_flat_workgroup_size: 256
    .name:           _ZN9rocsparseL18hyb2csr_nnz_kernelILj256EEEviiiiPKiiS2_Pi21rocsparse_index_base_
    .private_segment_fixed_size: 0
    .sgpr_count:     14
    .sgpr_spill_count: 0
    .symbol:         _ZN9rocsparseL18hyb2csr_nnz_kernelILj256EEEviiiiPKiiS2_Pi21rocsparse_index_base_.kd
    .uniform_work_group_size: 1
    .uses_dynamic_stack: false
    .vgpr_count:     7
    .vgpr_spill_count: 0
    .wavefront_size: 32
  - .args:
      - .offset:         0
        .size:           4
        .value_kind:     by_value
      - .offset:         4
        .size:           4
        .value_kind:     by_value
      - .offset:         8
        .size:           4
        .value_kind:     by_value
      - .offset:         12
        .size:           4
        .value_kind:     by_value
      - .address_space:  global
        .offset:         16
        .size:           8
        .value_kind:     global_buffer
      - .address_space:  global
        .offset:         24
        .size:           8
        .value_kind:     global_buffer
      - .offset:         32
        .size:           4
        .value_kind:     by_value
      - .address_space:  global
        .offset:         40
        .size:           8
        .value_kind:     global_buffer
      - .address_space:  global
        .offset:         48
        .size:           8
        .value_kind:     global_buffer
      - .address_space:  global
        .offset:         56
        .size:           8
        .value_kind:     global_buffer
      - .address_space:  global
        .offset:         64
        .size:           8
        .value_kind:     global_buffer
      - .address_space:  global
        .offset:         72
        .size:           8
        .value_kind:     global_buffer
      - .address_space:  global
        .offset:         80
        .size:           8
        .value_kind:     global_buffer
      - .offset:         88
        .size:           4
        .value_kind:     by_value
    .group_segment_fixed_size: 0
    .kernarg_segment_align: 8
    .kernarg_segment_size: 92
    .language:       OpenCL C
    .language_version:
      - 2
      - 0
    .max_flat_workgroup_size: 256
    .name:           _ZN9rocsparseL19hyb2csr_fill_kernelILj256EfEEviiiiPKiPKT0_iS2_S2_S5_S2_PiPS3_21rocsparse_index_base_
    .private_segment_fixed_size: 0
    .sgpr_count:     26
    .sgpr_spill_count: 0
    .symbol:         _ZN9rocsparseL19hyb2csr_fill_kernelILj256EfEEviiiiPKiPKT0_iS2_S2_S5_S2_PiPS3_21rocsparse_index_base_.kd
    .uniform_work_group_size: 1
    .uses_dynamic_stack: false
    .vgpr_count:     12
    .vgpr_spill_count: 0
    .wavefront_size: 32
  - .args:
      - .offset:         0
        .size:           4
        .value_kind:     by_value
      - .offset:         4
        .size:           4
        .value_kind:     by_value
      - .offset:         8
        .size:           4
        .value_kind:     by_value
      - .offset:         12
        .size:           4
        .value_kind:     by_value
      - .address_space:  global
        .offset:         16
        .size:           8
        .value_kind:     global_buffer
      - .address_space:  global
        .offset:         24
        .size:           8
        .value_kind:     global_buffer
      - .offset:         32
        .size:           4
        .value_kind:     by_value
      - .address_space:  global
        .offset:         40
        .size:           8
        .value_kind:     global_buffer
      - .address_space:  global
        .offset:         48
        .size:           8
        .value_kind:     global_buffer
      - .address_space:  global
        .offset:         56
        .size:           8
        .value_kind:     global_buffer
      - .address_space:  global
        .offset:         64
        .size:           8
        .value_kind:     global_buffer
      - .address_space:  global
        .offset:         72
        .size:           8
        .value_kind:     global_buffer
      - .address_space:  global
        .offset:         80
        .size:           8
        .value_kind:     global_buffer
      - .offset:         88
        .size:           4
        .value_kind:     by_value
    .group_segment_fixed_size: 0
    .kernarg_segment_align: 8
    .kernarg_segment_size: 92
    .language:       OpenCL C
    .language_version:
      - 2
      - 0
    .max_flat_workgroup_size: 256
    .name:           _ZN9rocsparseL19hyb2csr_fill_kernelILj256EdEEviiiiPKiPKT0_iS2_S2_S5_S2_PiPS3_21rocsparse_index_base_
    .private_segment_fixed_size: 0
    .sgpr_count:     26
    .sgpr_spill_count: 0
    .symbol:         _ZN9rocsparseL19hyb2csr_fill_kernelILj256EdEEviiiiPKiPKT0_iS2_S2_S5_S2_PiPS3_21rocsparse_index_base_.kd
    .uniform_work_group_size: 1
    .uses_dynamic_stack: false
    .vgpr_count:     14
    .vgpr_spill_count: 0
    .wavefront_size: 32
  - .args:
      - .offset:         0
        .size:           4
        .value_kind:     by_value
      - .offset:         4
        .size:           4
        .value_kind:     by_value
      - .offset:         8
        .size:           4
        .value_kind:     by_value
      - .offset:         12
        .size:           4
        .value_kind:     by_value
      - .address_space:  global
        .offset:         16
        .size:           8
        .value_kind:     global_buffer
      - .address_space:  global
        .offset:         24
        .size:           8
        .value_kind:     global_buffer
      - .offset:         32
        .size:           4
        .value_kind:     by_value
      - .address_space:  global
        .offset:         40
        .size:           8
        .value_kind:     global_buffer
      - .address_space:  global
        .offset:         48
        .size:           8
        .value_kind:     global_buffer
      - .address_space:  global
        .offset:         56
        .size:           8
        .value_kind:     global_buffer
      - .address_space:  global
        .offset:         64
        .size:           8
        .value_kind:     global_buffer
      - .address_space:  global
        .offset:         72
        .size:           8
        .value_kind:     global_buffer
      - .address_space:  global
        .offset:         80
        .size:           8
        .value_kind:     global_buffer
      - .offset:         88
        .size:           4
        .value_kind:     by_value
    .group_segment_fixed_size: 0
    .kernarg_segment_align: 8
    .kernarg_segment_size: 92
    .language:       OpenCL C
    .language_version:
      - 2
      - 0
    .max_flat_workgroup_size: 256
    .name:           _ZN9rocsparseL19hyb2csr_fill_kernelILj256E21rocsparse_complex_numIfEEEviiiiPKiPKT0_iS4_S4_S7_S4_PiPS5_21rocsparse_index_base_
    .private_segment_fixed_size: 0
    .sgpr_count:     26
    .sgpr_spill_count: 0
    .symbol:         _ZN9rocsparseL19hyb2csr_fill_kernelILj256E21rocsparse_complex_numIfEEEviiiiPKiPKT0_iS4_S4_S7_S4_PiPS5_21rocsparse_index_base_.kd
    .uniform_work_group_size: 1
    .uses_dynamic_stack: false
    .vgpr_count:     14
    .vgpr_spill_count: 0
    .wavefront_size: 32
  - .args:
      - .offset:         0
        .size:           4
        .value_kind:     by_value
      - .offset:         4
        .size:           4
        .value_kind:     by_value
      - .offset:         8
        .size:           4
        .value_kind:     by_value
      - .offset:         12
        .size:           4
        .value_kind:     by_value
      - .address_space:  global
        .offset:         16
        .size:           8
        .value_kind:     global_buffer
      - .address_space:  global
        .offset:         24
        .size:           8
        .value_kind:     global_buffer
      - .offset:         32
        .size:           4
        .value_kind:     by_value
      - .address_space:  global
        .offset:         40
        .size:           8
        .value_kind:     global_buffer
      - .address_space:  global
        .offset:         48
        .size:           8
        .value_kind:     global_buffer
      - .address_space:  global
        .offset:         56
        .size:           8
        .value_kind:     global_buffer
      - .address_space:  global
        .offset:         64
        .size:           8
        .value_kind:     global_buffer
      - .address_space:  global
        .offset:         72
        .size:           8
        .value_kind:     global_buffer
      - .address_space:  global
        .offset:         80
        .size:           8
        .value_kind:     global_buffer
      - .offset:         88
        .size:           4
        .value_kind:     by_value
    .group_segment_fixed_size: 0
    .kernarg_segment_align: 8
    .kernarg_segment_size: 92
    .language:       OpenCL C
    .language_version:
      - 2
      - 0
    .max_flat_workgroup_size: 256
    .name:           _ZN9rocsparseL19hyb2csr_fill_kernelILj256E21rocsparse_complex_numIdEEEviiiiPKiPKT0_iS4_S4_S7_S4_PiPS5_21rocsparse_index_base_
    .private_segment_fixed_size: 0
    .sgpr_count:     26
    .sgpr_spill_count: 0
    .symbol:         _ZN9rocsparseL19hyb2csr_fill_kernelILj256E21rocsparse_complex_numIdEEEviiiiPKiPKT0_iS4_S4_S7_S4_PiPS5_21rocsparse_index_base_.kd
    .uniform_work_group_size: 1
    .uses_dynamic_stack: false
    .vgpr_count:     16
    .vgpr_spill_count: 0
    .wavefront_size: 32
amdhsa.target:   amdgcn-amd-amdhsa--gfx1250
amdhsa.version:
  - 1
  - 2
...

	.end_amdgpu_metadata
